;; amdgpu-corpus repo=ROCm/rocm-examples kind=compiled arch=gfx1030 opt=O3
	.amdgcn_target "amdgcn-amd-amdhsa--gfx1030"
	.amdhsa_code_object_version 6
	.text
	.protected	_Z5emptyiPd             ; -- Begin function _Z5emptyiPd
	.globl	_Z5emptyiPd
	.p2align	8
	.type	_Z5emptyiPd,@function
_Z5emptyiPd:                            ; @_Z5emptyiPd
; %bb.0:
	s_endpgm
	.section	.rodata,"a",@progbits
	.p2align	6, 0x0
	.amdhsa_kernel _Z5emptyiPd
		.amdhsa_group_segment_fixed_size 0
		.amdhsa_private_segment_fixed_size 0
		.amdhsa_kernarg_size 16
		.amdhsa_user_sgpr_count 6
		.amdhsa_user_sgpr_private_segment_buffer 1
		.amdhsa_user_sgpr_dispatch_ptr 0
		.amdhsa_user_sgpr_queue_ptr 0
		.amdhsa_user_sgpr_kernarg_segment_ptr 1
		.amdhsa_user_sgpr_dispatch_id 0
		.amdhsa_user_sgpr_flat_scratch_init 0
		.amdhsa_user_sgpr_private_segment_size 0
		.amdhsa_wavefront_size32 1
		.amdhsa_uses_dynamic_stack 0
		.amdhsa_system_sgpr_private_segment_wavefront_offset 0
		.amdhsa_system_sgpr_workgroup_id_x 1
		.amdhsa_system_sgpr_workgroup_id_y 0
		.amdhsa_system_sgpr_workgroup_id_z 0
		.amdhsa_system_sgpr_workgroup_info 0
		.amdhsa_system_vgpr_workitem_id 0
		.amdhsa_next_free_vgpr 1
		.amdhsa_next_free_sgpr 1
		.amdhsa_reserve_vcc 0
		.amdhsa_reserve_flat_scratch 0
		.amdhsa_float_round_mode_32 0
		.amdhsa_float_round_mode_16_64 0
		.amdhsa_float_denorm_mode_32 3
		.amdhsa_float_denorm_mode_16_64 3
		.amdhsa_dx10_clamp 1
		.amdhsa_ieee_mode 1
		.amdhsa_fp16_overflow 0
		.amdhsa_workgroup_processor_mode 1
		.amdhsa_memory_ordered 1
		.amdhsa_forward_progress 1
		.amdhsa_shared_vgpr_count 0
		.amdhsa_exception_fp_ieee_invalid_op 0
		.amdhsa_exception_fp_denorm_src 0
		.amdhsa_exception_fp_ieee_div_zero 0
		.amdhsa_exception_fp_ieee_overflow 0
		.amdhsa_exception_fp_ieee_underflow 0
		.amdhsa_exception_fp_ieee_inexact 0
		.amdhsa_exception_int_div_zero 0
	.end_amdhsa_kernel
	.text
.Lfunc_end0:
	.size	_Z5emptyiPd, .Lfunc_end0-_Z5emptyiPd
                                        ; -- End function
	.set _Z5emptyiPd.num_vgpr, 0
	.set _Z5emptyiPd.num_agpr, 0
	.set _Z5emptyiPd.numbered_sgpr, 0
	.set _Z5emptyiPd.num_named_barrier, 0
	.set _Z5emptyiPd.private_seg_size, 0
	.set _Z5emptyiPd.uses_vcc, 0
	.set _Z5emptyiPd.uses_flat_scratch, 0
	.set _Z5emptyiPd.has_dyn_sized_stack, 0
	.set _Z5emptyiPd.has_recursion, 0
	.set _Z5emptyiPd.has_indirect_call, 0
	.section	.AMDGPU.csdata,"",@progbits
; Kernel info:
; codeLenInByte = 4
; TotalNumSgprs: 0
; NumVgprs: 0
; ScratchSize: 0
; MemoryBound: 0
; FloatMode: 240
; IeeeMode: 1
; LDSByteSize: 0 bytes/workgroup (compile time only)
; SGPRBlocks: 0
; VGPRBlocks: 0
; NumSGPRsForWavesPerEU: 1
; NumVGPRsForWavesPerEU: 1
; Occupancy: 16
; WaveLimiterHint : 0
; COMPUTE_PGM_RSRC2:SCRATCH_EN: 0
; COMPUTE_PGM_RSRC2:USER_SGPR: 6
; COMPUTE_PGM_RSRC2:TRAP_HANDLER: 0
; COMPUTE_PGM_RSRC2:TGID_X_EN: 1
; COMPUTE_PGM_RSRC2:TGID_Y_EN: 0
; COMPUTE_PGM_RSRC2:TGID_Z_EN: 0
; COMPUTE_PGM_RSRC2:TIDIG_COMP_CNT: 0
	.text
	.protected	_Z9vgprboundiPd         ; -- Begin function _Z9vgprboundiPd
	.globl	_Z9vgprboundiPd
	.p2align	8
	.type	_Z9vgprboundiPd,@function
_Z9vgprboundiPd:                        ; @_Z9vgprboundiPd
; %bb.0:
	s_clause 0x1
	s_load_dwordx2 s[0:1], s[4:5], 0x8
	s_load_dword s33, s[4:5], 0x0
	v_lshlrev_b32_e32 v2, 3, v0
	v_mov_b32_e32 v36, 0
	s_mov_b32 s6, 0x55555555
	s_mov_b32 s54, 0x11110bb3
	;; [unrolled: 1-line block ×16, first 2 shown]
	s_waitcnt lgkmcnt(0)
	global_load_dwordx2 v[32:33], v2, s[0:1]
	v_mul_lo_u32 v0, s33, v0
	v_add_co_u32 v34, s0, s0, v2
	v_add_co_ci_u32_e64 v35, null, s1, 0, s0
	s_mov_b32 s30, 0x55555555
	s_mov_b32 s34, 0xd5df274d
	;; [unrolled: 1-line block ×3, first 2 shown]
	v_cvt_f64_u32_e32 v[0:1], v0
	s_mov_b32 s42, 0xfca7ab0c
	s_mov_b32 s44, 0x6a5dcb37
	;; [unrolled: 1-line block ×21, first 2 shown]
	v_mov_b32_e32 v3, v1
	v_mov_b32_e32 v5, v1
	;; [unrolled: 1-line block ×30, first 2 shown]
	s_mov_b32 s98, 0
	s_mov_b32 s5, 0x3fe55555
	;; [unrolled: 1-line block ×49, first 2 shown]
	s_branch .LBB1_2
.LBB1_1:                                ;   in Loop: Header=BB1_2 Depth=1
	s_or_b32 exec_lo, exec_lo, s0
	v_mul_f64 v[44:45], v[40:41], v[40:41]
	v_mul_f64 v[54:55], v[42:43], 0.5
	s_mov_b32 m0, s96
	s_mov_b32 s96, s6
	v_cmp_class_f64_e64 s0, v[38:39], 0x1f8
	s_add_i32 s98, s98, 1
	s_cmpk_eq_i32 s98, 0x64
	v_fma_f64 v[46:47], v[44:45], s[90:91], s[88:89]
	v_fma_f64 v[48:49], v[44:45], s[80:81], s[78:79]
	v_mul_f64 v[50:51], v[44:45], 0.5
	v_mul_f64 v[56:57], v[40:41], -v[44:45]
	v_fma_f64 v[46:47], v[44:45], v[46:47], s[92:93]
	v_fma_f64 v[48:49], v[44:45], v[48:49], s[82:83]
	v_add_f64 v[52:53], -v[50:51], 1.0
	v_fma_f64 v[46:47], v[44:45], v[46:47], s[94:95]
	v_fma_f64 v[48:49], v[44:45], v[48:49], s[84:85]
	v_add_f64 v[58:59], -v[52:53], 1.0
	v_fma_f64 v[46:47], v[44:45], v[46:47], s[54:55]
	v_fma_f64 v[48:49], v[44:45], v[48:49], s[86:87]
	v_add_f64 v[50:51], v[58:59], -v[50:51]
	v_fma_f64 v[46:47], v[56:57], v[46:47], v[54:55]
	v_mul_f64 v[54:55], v[44:45], v[44:45]
	v_fma_f64 v[48:49], v[44:45], v[48:49], s[6:7]
	v_fma_f64 v[50:51], v[40:41], -v[42:43], v[50:51]
	v_fma_f64 v[42:43], v[44:45], v[46:47], -v[42:43]
	v_fma_f64 v[44:45], v[54:55], v[48:49], v[50:51]
	v_fma_f64 v[42:43], v[56:57], s[96:97], v[42:43]
	v_add_f64 v[44:45], v[52:53], v[44:45]
	v_add_f64 v[40:41], v[40:41], -v[42:43]
	v_and_b32_e32 v42, 1, v37
	v_lshlrev_b32_e32 v37, 30, v37
	v_cmp_eq_u32_e32 vcc_lo, 0, v42
	v_xor_b32_e32 v37, v37, v39
	v_and_b32_e32 v37, 0x80000000, v37
	v_cndmask_b32_e32 v38, v45, v41, vcc_lo
	v_cndmask_b32_e32 v40, v44, v40, vcc_lo
	v_xor_b32_e32 v38, v38, v37
	v_cndmask_b32_e64 v37, 0, v40, s0
	v_cndmask_b32_e64 v38, 0x7ff80000, v38, s0
	v_add_f64 v[32:33], v[32:33], v[37:38]
	v_movreld_b32_e32 v0, v32
	v_movreld_b32_e32 v1, v33
	s_cbranch_scc1 .LBB1_6
.LBB1_2:                                ; =>This Inner Loop Header: Depth=1
	s_lshl_b32 s0, s98, 2
	s_and_b32 s0, s0, 0x7c
	v_mov_b32_e32 v38, s0
	s_add_i32 s0, s98, -1
	s_bfe_i32 s1, s0, 0x80000
	s_bfe_u32 s1, s1, 0x4000b
	s_waitcnt vmcnt(0)
	ds_bpermute_b32 v37, v38, v32
	ds_bpermute_b32 v38, v38, v33
	s_add_i32 s1, s0, s1
	s_and_b32 s1, s1, 0xf0
	s_sub_i32 s0, s0, s1
	s_sext_i32_i8 s0, s0
	s_lshl_b32 m0, s0, 1
	s_and_b32 s0, s98, 15
	v_movrels_b32_e32 v40, v1
	v_movrels_b32_e32 v39, v0
	s_lshl_b32 s96, s0, 1
	s_mov_b32 m0, s96
	v_movrels_b32_e32 v41, v0
	s_waitcnt lgkmcnt(0)
	v_mul_f64 v[37:38], v[39:40], v[37:38]
	v_movrels_b32_e32 v39, v1
	v_cmp_neq_f64_e32 vcc_lo, 1.0, v[37:38]
	v_cndmask_b32_e32 v40, 0x3ff00000, v39, vcc_lo
	v_cndmask_b32_e32 v39, 0, v41, vcc_lo
	v_cmp_neq_f64_e32 vcc_lo, 0, v[39:40]
	v_cmp_neq_f64_e64 s3, v[39:40], |v[39:40]|
	v_cndmask_b32_e32 v38, 0x3ff00000, v38, vcc_lo
	v_cndmask_b32_e32 v37, 0, v37, vcc_lo
	v_frexp_mant_f64_e64 v[41:42], |v[37:38]|
	v_cmp_lt_f64_e64 s64, |v[37:38]|, 1.0
	v_cmp_eq_f64_e64 s2, 0, v[37:38]
	v_cmp_gt_f64_e32 vcc_lo, s[4:5], v[41:42]
	s_xor_b32 s3, s3, s64
	v_cmp_class_f64_e64 s64, v[37:38], 0x204
	v_cndmask_b32_e64 v43, 0, 1, vcc_lo
	v_ldexp_f64 v[41:42], v[41:42], v43
	v_add_f64 v[43:44], v[41:42], 1.0
	v_add_f64 v[49:50], v[41:42], -1.0
	v_rcp_f64_e32 v[45:46], v[43:44]
	v_add_f64 v[51:52], v[43:44], -1.0
	v_add_f64 v[41:42], v[41:42], -v[51:52]
	v_fma_f64 v[47:48], -v[43:44], v[45:46], 1.0
	v_fma_f64 v[45:46], v[47:48], v[45:46], v[45:46]
	v_fma_f64 v[47:48], -v[43:44], v[45:46], 1.0
	v_fma_f64 v[45:46], v[47:48], v[45:46], v[45:46]
	v_mul_f64 v[47:48], v[49:50], v[45:46]
	v_mul_f64 v[53:54], v[43:44], v[47:48]
	v_fma_f64 v[43:44], v[47:48], v[43:44], -v[53:54]
	v_fma_f64 v[41:42], v[47:48], v[41:42], v[43:44]
	v_add_f64 v[43:44], v[53:54], v[41:42]
	v_add_f64 v[51:52], v[49:50], -v[43:44]
	v_add_f64 v[53:54], v[43:44], -v[53:54]
	;; [unrolled: 1-line block ×5, first 2 shown]
	v_add_f64 v[41:42], v[41:42], v[43:44]
	v_add_f64 v[41:42], v[51:52], v[41:42]
	v_mul_f64 v[41:42], v[45:46], v[41:42]
	v_add_f64 v[43:44], v[47:48], v[41:42]
	v_add_f64 v[45:46], v[43:44], -v[47:48]
	v_mul_f64 v[47:48], v[43:44], v[43:44]
	v_add_f64 v[41:42], v[41:42], -v[45:46]
	v_fma_f64 v[45:46], v[43:44], v[43:44], -v[47:48]
	v_add_f64 v[49:50], v[41:42], v[41:42]
	v_fma_f64 v[45:46], v[43:44], v[49:50], v[45:46]
	v_add_f64 v[49:50], v[47:48], v[45:46]
	v_fma_f64 v[51:52], v[49:50], s[10:11], s[8:9]
	v_add_f64 v[47:48], v[49:50], -v[47:48]
	v_mul_f64 v[57:58], v[43:44], v[49:50]
	v_fma_f64 v[51:52], v[49:50], v[51:52], s[12:13]
	v_add_f64 v[45:46], v[45:46], -v[47:48]
	v_fma_f64 v[51:52], v[49:50], v[51:52], s[14:15]
	v_fma_f64 v[51:52], v[49:50], v[51:52], s[16:17]
	;; [unrolled: 1-line block ×6, first 2 shown]
	v_mul_f64 v[53:54], v[49:50], v[51:52]
	v_fma_f64 v[47:48], v[49:50], v[51:52], -v[53:54]
	v_fma_f64 v[47:48], v[45:46], v[51:52], v[47:48]
	v_add_f64 v[51:52], v[53:54], v[47:48]
	v_add_f64 v[55:56], v[51:52], s[4:5]
	v_add_f64 v[53:54], v[51:52], -v[53:54]
	v_add_f64 v[59:60], v[55:56], s[30:31]
	v_add_f64 v[47:48], v[47:48], -v[53:54]
	v_fma_f64 v[53:54], v[49:50], v[43:44], -v[57:58]
	v_add_f64 v[51:52], v[51:52], -v[59:60]
	v_add_f64 v[47:48], v[47:48], s[34:35]
	v_fma_f64 v[49:50], v[49:50], v[41:42], v[53:54]
	v_ldexp_f64 v[41:42], v[41:42], 1
	v_add_f64 v[47:48], v[47:48], v[51:52]
	v_fma_f64 v[45:46], v[45:46], v[43:44], v[49:50]
	v_ldexp_f64 v[43:44], v[43:44], 1
	v_add_f64 v[49:50], v[55:56], v[47:48]
	v_add_f64 v[51:52], v[57:58], v[45:46]
	v_add_f64 v[53:54], v[55:56], -v[49:50]
	v_mul_f64 v[55:56], v[51:52], v[49:50]
	v_add_f64 v[57:58], v[51:52], -v[57:58]
	v_add_f64 v[47:48], v[47:48], v[53:54]
	v_fma_f64 v[53:54], v[51:52], v[49:50], -v[55:56]
	v_add_f64 v[45:46], v[45:46], -v[57:58]
	v_fma_f64 v[47:48], v[51:52], v[47:48], v[53:54]
	v_fma_f64 v[45:46], v[45:46], v[49:50], v[47:48]
	v_frexp_exp_i32_f64_e32 v49, v[37:38]
	v_add_f64 v[47:48], v[55:56], v[45:46]
	v_subrev_co_ci_u32_e64 v49, null, 0, v49, vcc_lo
	v_cvt_f64_i32_e32 v[49:50], v49
	v_add_f64 v[51:52], v[43:44], v[47:48]
	v_add_f64 v[53:54], v[47:48], -v[55:56]
	v_mul_f64 v[55:56], v[49:50], s[26:27]
	v_add_f64 v[43:44], v[51:52], -v[43:44]
	v_add_f64 v[45:46], v[45:46], -v[53:54]
	v_fma_f64 v[53:54], v[49:50], s[26:27], -v[55:56]
	v_add_f64 v[43:44], v[47:48], -v[43:44]
	v_add_f64 v[41:42], v[41:42], v[45:46]
	v_fma_f64 v[45:46], v[49:50], s[28:29], v[53:54]
	v_add_f64 v[41:42], v[41:42], v[43:44]
	v_add_f64 v[43:44], v[55:56], v[45:46]
	;; [unrolled: 1-line block ×3, first 2 shown]
	v_add_f64 v[55:56], v[43:44], -v[55:56]
	v_add_f64 v[49:50], v[43:44], v[47:48]
	v_add_f64 v[51:52], v[47:48], -v[51:52]
	v_add_f64 v[45:46], v[45:46], -v[55:56]
	v_add_f64 v[53:54], v[49:50], -v[43:44]
	v_add_f64 v[41:42], v[41:42], -v[51:52]
	v_add_f64 v[57:58], v[49:50], -v[53:54]
	v_add_f64 v[47:48], v[47:48], -v[53:54]
	v_add_f64 v[51:52], v[45:46], v[41:42]
	v_add_f64 v[43:44], v[43:44], -v[57:58]
	v_add_f64 v[43:44], v[47:48], v[43:44]
	v_add_f64 v[47:48], v[51:52], -v[45:46]
	;; [unrolled: 2-line block ×3, first 2 shown]
	v_add_f64 v[41:42], v[41:42], -v[47:48]
	v_add_f64 v[53:54], v[49:50], v[43:44]
	v_add_f64 v[45:46], v[45:46], -v[51:52]
	v_add_f64 v[47:48], v[53:54], -v[49:50]
	v_add_f64 v[41:42], v[41:42], v[45:46]
	v_add_f64 v[43:44], v[43:44], -v[47:48]
	v_add_f64 v[41:42], v[41:42], v[43:44]
	v_add_f64 v[43:44], v[53:54], v[41:42]
	v_add_f64 v[45:46], v[43:44], -v[53:54]
	v_mul_f64 v[47:48], v[39:40], v[43:44]
	v_add_f64 v[41:42], v[41:42], -v[45:46]
	v_fma_f64 v[43:44], v[39:40], v[43:44], -v[47:48]
	v_cmp_class_f64_e64 vcc_lo, v[47:48], 0x204
	v_fma_f64 v[41:42], v[39:40], v[41:42], v[43:44]
	v_add_f64 v[43:44], v[47:48], v[41:42]
	v_cndmask_b32_e32 v46, v44, v48, vcc_lo
	v_cndmask_b32_e32 v45, v43, v47, vcc_lo
	v_add_f64 v[43:44], v[43:44], -v[47:48]
	v_mul_f64 v[49:50], v[45:46], s[36:37]
	v_cmp_nlt_f64_e64 s0, 0x40900000, v[45:46]
	v_cmp_neq_f64_e64 vcc_lo, 0x7ff00000, |v[45:46]|
	v_cmp_ngt_f64_e64 s1, 0xc090cc00, v[45:46]
	v_add_f64 v[41:42], v[41:42], -v[43:44]
	v_trunc_f64_e32 v[43:44], v[39:40]
	v_rndne_f64_e32 v[49:50], v[49:50]
	v_cndmask_b32_e32 v42, 0, v42, vcc_lo
	v_cndmask_b32_e32 v41, 0, v41, vcc_lo
	s_and_b32 vcc_lo, s1, s0
	v_fma_f64 v[51:52], v[49:50], s[38:39], v[45:46]
	v_cvt_i32_f64_e32 v55, v[49:50]
	v_fma_f64 v[51:52], v[49:50], s[40:41], v[51:52]
	v_fma_f64 v[53:54], v[51:52], s[44:45], s[42:43]
	;; [unrolled: 1-line block ×10, first 2 shown]
	v_fma_f64 v[53:54], v[51:52], v[53:54], 1.0
	v_fma_f64 v[49:50], v[51:52], v[53:54], 1.0
	v_ldexp_f64 v[47:48], v[49:50], v55
	v_mul_f64 v[49:50], v[39:40], 0.5
	v_cndmask_b32_e64 v48, 0x7ff00000, v48, s0
	v_trunc_f64_e32 v[45:46], v[49:50]
	v_cndmask_b32_e32 v47, 0, v47, vcc_lo
	v_cmp_eq_f64_e32 vcc_lo, v[43:44], v[39:40]
	v_cndmask_b32_e64 v48, 0, v48, s1
	v_fma_f64 v[41:42], v[47:48], v[41:42], v[47:48]
	v_cmp_class_f64_e64 s1, v[47:48], 0x204
	v_cmp_neq_f64_e64 s0, v[45:46], v[49:50]
	v_cndmask_b32_e64 v45, 0x7ff00000, 0, s3
	v_cmp_neq_f64_e64 s3, |v[37:38]|, 1.0
	v_cndmask_b32_e64 v42, v42, v48, s1
	v_cndmask_b32_e64 v41, v41, v47, s1
	v_cmp_gt_f64_e64 s1, 0, v[39:40]
	v_cndmask_b32_e32 v44, 0, v41, vcc_lo
	s_and_b32 s0, vcc_lo, s0
	v_cndmask_b32_e64 v43, 0x3ff00000, v38, s0
	v_cndmask_b32_e64 v45, 0x3ff00000, v45, s3
	v_bfi_b32 v42, 0x7fffffff, v42, v43
	v_cndmask_b32_e32 v43, 0x7ff80000, v42, vcc_lo
	v_cmp_gt_f64_e32 vcc_lo, 0, v[37:38]
	s_xor_b32 s1, s1, s2
	v_cndmask_b32_e32 v41, v41, v44, vcc_lo
	v_cndmask_b32_e32 v42, v42, v43, vcc_lo
	v_cmp_class_f64_e64 vcc_lo, v[39:40], 0x204
	v_cndmask_b32_e64 v43, 0x7ff00000, 0, s1
	v_cndmask_b32_e64 v44, 0, v38, s0
	s_or_b32 s0, s2, s64
	v_bfi_b32 v43, 0x7fffffff, v43, v44
	v_cndmask_b32_e32 v42, v42, v45, vcc_lo
	v_cndmask_b32_e64 v42, v42, v43, s0
	s_or_b32 s0, s0, vcc_lo
	v_cmp_o_f64_e32 vcc_lo, v[37:38], v[39:40]
	v_cndmask_b32_e64 v41, v41, 0, s0
                                        ; implicit-def: $vgpr37
	v_cndmask_b32_e32 v38, 0, v41, vcc_lo
	v_cndmask_b32_e32 v39, 0x7ff80000, v42, vcc_lo
                                        ; implicit-def: $vgpr40_vgpr41
                                        ; implicit-def: $vgpr42_vgpr43
	v_cmp_ngt_f64_e64 s0, 0x41d00000, |v[38:39]|
	s_and_saveexec_b32 s1, s0
	s_xor_b32 s0, exec_lo, s1
	s_cbranch_execz .LBB1_4
; %bb.3:                                ;   in Loop: Header=BB1_2 Depth=1
	v_ldexp_f64 v[40:41], |v[38:39]|, 0xffffff80
	v_cmp_le_f64_e64 vcc_lo, 0x7b000000, |v[38:39]|
	v_trig_preop_f64 v[42:43], |v[38:39]|, 0
	v_and_b32_e32 v37, 0x7fffffff, v39
	v_trig_preop_f64 v[44:45], |v[38:39]|, 1
	v_trig_preop_f64 v[54:55], |v[38:39]|, 2
	s_mov_b32 s64, s66
	s_mov_b32 s71, s69
	v_cndmask_b32_e32 v41, v37, v41, vcc_lo
	v_cndmask_b32_e32 v40, v38, v40, vcc_lo
	v_mul_f64 v[46:47], v[42:43], v[40:41]
	v_mul_f64 v[48:49], v[44:45], v[40:41]
	;; [unrolled: 1-line block ×3, first 2 shown]
	v_fma_f64 v[42:43], v[42:43], v[40:41], -v[46:47]
	v_fma_f64 v[44:45], v[44:45], v[40:41], -v[48:49]
	;; [unrolled: 1-line block ×3, first 2 shown]
	v_add_f64 v[50:51], v[48:49], v[42:43]
	v_add_f64 v[52:53], v[50:51], -v[48:49]
	v_add_f64 v[58:59], v[46:47], v[50:51]
	v_add_f64 v[56:57], v[50:51], -v[52:53]
	v_add_f64 v[42:43], v[42:43], -v[52:53]
	v_ldexp_f64 v[52:53], v[58:59], -2
	v_add_f64 v[46:47], v[58:59], -v[46:47]
	v_add_f64 v[48:49], v[48:49], -v[56:57]
	v_add_f64 v[56:57], v[60:61], v[44:45]
	v_cmp_neq_f64_e64 vcc_lo, 0x7ff00000, |v[52:53]|
	v_add_f64 v[46:47], v[50:51], -v[46:47]
	v_add_f64 v[42:43], v[42:43], v[48:49]
	v_fract_f64_e32 v[48:49], v[52:53]
	v_add_f64 v[50:51], v[56:57], v[42:43]
	v_ldexp_f64 v[48:49], v[48:49], 2
	v_add_f64 v[52:53], v[46:47], v[50:51]
	v_cndmask_b32_e32 v49, 0, v49, vcc_lo
	v_cndmask_b32_e32 v48, 0, v48, vcc_lo
	v_add_f64 v[62:63], v[50:51], -v[56:57]
	v_add_f64 v[58:59], v[52:53], v[48:49]
	v_add_f64 v[46:47], v[52:53], -v[46:47]
	v_add_f64 v[68:69], v[50:51], -v[62:63]
	;; [unrolled: 1-line block ×3, first 2 shown]
	v_cmp_gt_f64_e32 vcc_lo, 0, v[58:59]
	v_add_f64 v[58:59], v[56:57], -v[60:61]
	v_add_f64 v[46:47], v[50:51], -v[46:47]
	v_cndmask_b32_e64 v37, 0, 0x40100000, vcc_lo
	v_add_f64 v[66:67], v[56:57], -v[58:59]
	v_add_f64 v[44:45], v[44:45], -v[58:59]
	;; [unrolled: 1-line block ×3, first 2 shown]
	v_add_f64 v[48:49], v[48:49], v[36:37]
	v_add_f64 v[58:59], v[60:61], -v[66:67]
	v_add_f64 v[42:43], v[42:43], v[56:57]
	v_add_f64 v[64:65], v[52:53], v[48:49]
	;; [unrolled: 1-line block ×3, first 2 shown]
	v_cvt_i32_f64_e32 v64, v[64:65]
	v_add_f64 v[42:43], v[44:45], v[42:43]
	v_cvt_f64_i32_e32 v[62:63], v64
	v_add_f64 v[40:41], v[40:41], v[42:43]
	v_add_f64 v[48:49], v[48:49], -v[62:63]
	v_add_f64 v[40:41], v[46:47], v[40:41]
	v_add_f64 v[44:45], v[52:53], v[48:49]
	v_add_f64 v[42:43], v[44:45], -v[48:49]
	v_cmp_le_f64_e32 vcc_lo, 0.5, v[44:45]
	v_add_f64 v[42:43], v[52:53], -v[42:43]
	v_cndmask_b32_e64 v37, 0, 0x3ff00000, vcc_lo
	v_add_f64 v[40:41], v[40:41], v[42:43]
	v_add_f64 v[42:43], v[44:45], -v[36:37]
	v_add_co_ci_u32_e64 v37, null, 0, v64, vcc_lo
	v_add_f64 v[44:45], v[42:43], v[40:41]
	v_mul_f64 v[46:47], v[44:45], s[64:65]
	v_add_f64 v[42:43], v[44:45], -v[42:43]
	v_fma_f64 v[48:49], v[44:45], s[64:65], -v[46:47]
	v_add_f64 v[40:41], v[40:41], -v[42:43]
	v_fma_f64 v[42:43], v[44:45], s[70:71], v[48:49]
	v_fma_f64 v[42:43], v[40:41], s[64:65], v[42:43]
	v_add_f64 v[40:41], v[46:47], v[42:43]
	v_add_f64 v[44:45], v[40:41], -v[46:47]
	v_add_f64 v[42:43], v[42:43], -v[44:45]
.LBB1_4:                                ;   in Loop: Header=BB1_2 Depth=1
	s_andn2_saveexec_b32 s0, s0
	s_cbranch_execz .LBB1_1
; %bb.5:                                ;   in Loop: Header=BB1_2 Depth=1
	v_mul_f64 v[40:41], |v[38:39]|, s[72:73]
	s_mov_b32 s68, s74
	v_rndne_f64_e32 v[44:45], v[40:41]
	v_fma_f64 v[40:41], v[44:45], s[66:67], |v[38:39]|
	v_mul_f64 v[42:43], v[44:45], s[74:75]
	v_cvt_i32_f64_e32 v37, v[44:45]
	v_fma_f64 v[48:49], v[44:45], s[74:75], v[40:41]
	v_add_f64 v[46:47], v[40:41], v[42:43]
	v_add_f64 v[40:41], v[40:41], -v[46:47]
	v_add_f64 v[46:47], v[46:47], -v[48:49]
	v_add_f64 v[40:41], v[40:41], v[42:43]
	v_fma_f64 v[42:43], v[44:45], s[68:69], v[42:43]
	v_add_f64 v[40:41], v[46:47], v[40:41]
	v_add_f64 v[40:41], v[40:41], -v[42:43]
	v_fma_f64 v[42:43], v[44:45], s[76:77], v[40:41]
	v_add_f64 v[40:41], v[48:49], v[42:43]
	v_add_f64 v[46:47], v[40:41], -v[48:49]
	v_add_f64 v[42:43], v[42:43], -v[46:47]
	s_branch .LBB1_1
.LBB1_6:
	v_cvt_f64_i32_e32 v[0:1], s33
	s_mov_b32 s0, exec_lo
	v_cmpx_eq_f64_e32 v[32:33], v[0:1]
	s_cbranch_execz .LBB1_8
; %bb.7:
	global_store_dwordx2 v[34:35], v[32:33], off
.LBB1_8:
	s_endpgm
	.section	.rodata,"a",@progbits
	.p2align	6, 0x0
	.amdhsa_kernel _Z9vgprboundiPd
		.amdhsa_group_segment_fixed_size 0
		.amdhsa_private_segment_fixed_size 0
		.amdhsa_kernarg_size 16
		.amdhsa_user_sgpr_count 6
		.amdhsa_user_sgpr_private_segment_buffer 1
		.amdhsa_user_sgpr_dispatch_ptr 0
		.amdhsa_user_sgpr_queue_ptr 0
		.amdhsa_user_sgpr_kernarg_segment_ptr 1
		.amdhsa_user_sgpr_dispatch_id 0
		.amdhsa_user_sgpr_flat_scratch_init 0
		.amdhsa_user_sgpr_private_segment_size 0
		.amdhsa_wavefront_size32 1
		.amdhsa_uses_dynamic_stack 0
		.amdhsa_system_sgpr_private_segment_wavefront_offset 0
		.amdhsa_system_sgpr_workgroup_id_x 1
		.amdhsa_system_sgpr_workgroup_id_y 0
		.amdhsa_system_sgpr_workgroup_id_z 0
		.amdhsa_system_sgpr_workgroup_info 0
		.amdhsa_system_vgpr_workitem_id 0
		.amdhsa_next_free_vgpr 70
		.amdhsa_next_free_sgpr 99
		.amdhsa_reserve_vcc 1
		.amdhsa_reserve_flat_scratch 0
		.amdhsa_float_round_mode_32 0
		.amdhsa_float_round_mode_16_64 0
		.amdhsa_float_denorm_mode_32 3
		.amdhsa_float_denorm_mode_16_64 3
		.amdhsa_dx10_clamp 1
		.amdhsa_ieee_mode 1
		.amdhsa_fp16_overflow 0
		.amdhsa_workgroup_processor_mode 1
		.amdhsa_memory_ordered 1
		.amdhsa_forward_progress 1
		.amdhsa_shared_vgpr_count 0
		.amdhsa_exception_fp_ieee_invalid_op 0
		.amdhsa_exception_fp_denorm_src 0
		.amdhsa_exception_fp_ieee_div_zero 0
		.amdhsa_exception_fp_ieee_overflow 0
		.amdhsa_exception_fp_ieee_underflow 0
		.amdhsa_exception_fp_ieee_inexact 0
		.amdhsa_exception_int_div_zero 0
	.end_amdhsa_kernel
	.text
.Lfunc_end1:
	.size	_Z9vgprboundiPd, .Lfunc_end1-_Z9vgprboundiPd
                                        ; -- End function
	.set _Z9vgprboundiPd.num_vgpr, 70
	.set _Z9vgprboundiPd.num_agpr, 0
	.set _Z9vgprboundiPd.numbered_sgpr, 99
	.set _Z9vgprboundiPd.num_named_barrier, 0
	.set _Z9vgprboundiPd.private_seg_size, 0
	.set _Z9vgprboundiPd.uses_vcc, 1
	.set _Z9vgprboundiPd.uses_flat_scratch, 0
	.set _Z9vgprboundiPd.has_dyn_sized_stack, 0
	.set _Z9vgprboundiPd.has_recursion, 0
	.set _Z9vgprboundiPd.has_indirect_call, 0
	.section	.AMDGPU.csdata,"",@progbits
; Kernel info:
; codeLenInByte = 3532
; TotalNumSgprs: 101
; NumVgprs: 70
; ScratchSize: 0
; MemoryBound: 0
; FloatMode: 240
; IeeeMode: 1
; LDSByteSize: 0 bytes/workgroup (compile time only)
; SGPRBlocks: 0
; VGPRBlocks: 8
; NumSGPRsForWavesPerEU: 101
; NumVGPRsForWavesPerEU: 70
; Occupancy: 12
; WaveLimiterHint : 0
; COMPUTE_PGM_RSRC2:SCRATCH_EN: 0
; COMPUTE_PGM_RSRC2:USER_SGPR: 6
; COMPUTE_PGM_RSRC2:TRAP_HANDLER: 0
; COMPUTE_PGM_RSRC2:TGID_X_EN: 1
; COMPUTE_PGM_RSRC2:TGID_Y_EN: 0
; COMPUTE_PGM_RSRC2:TGID_Z_EN: 0
; COMPUTE_PGM_RSRC2:TIDIG_COMP_CNT: 0
	.text
	.protected	_Z8ldsboundiPd          ; -- Begin function _Z8ldsboundiPd
	.globl	_Z8ldsboundiPd
	.p2align	8
	.type	_Z8ldsboundiPd,@function
_Z8ldsboundiPd:                         ; @_Z8ldsboundiPd
; %bb.0:
	s_clause 0x1
	s_load_dword s33, s[4:5], 0x0
	s_load_dword s0, s[4:5], 0x1c
	v_lshlrev_b32_e32 v13, 3, v0
	v_mov_b32_e32 v4, v0
	v_mov_b32_e32 v3, v13
	s_waitcnt lgkmcnt(0)
	v_mul_lo_u32 v1, s33, v0
	s_and_b32 s98, s0, 0xffff
	s_mov_b32 s0, 0
	s_lshl_b32 s99, s98, 3
	v_cvt_f64_u32_e32 v[1:2], v1
.LBB2_1:                                ; =>This Inner Loop Header: Depth=1
	v_add_nc_u32_e32 v4, s98, v4
	ds_write_b64 v3, v[1:2]
	v_add_nc_u32_e32 v3, s99, v3
	v_cmp_lt_u32_e32 vcc_lo, 0x1fff, v4
	s_or_b32 s0, vcc_lo, s0
	s_andn2_b32 exec_lo, exec_lo, s0
	s_cbranch_execnz .LBB2_1
; %bb.2:
	s_or_b32 exec_lo, exec_lo, s0
	s_load_dwordx2 s[0:1], s[4:5], 0x8
	v_lshlrev_b32_e32 v3, 3, v0
	s_waitcnt lgkmcnt(0)
	s_barrier
	buffer_gl0_inv
	v_mov_b32_e32 v5, 0
	s_mov_b32 s6, 0x55555555
	s_mov_b32 s54, 0x11110bb3
	;; [unrolled: 1-line block ×14, first 2 shown]
	global_load_dwordx2 v[1:2], v3, s[0:1]
	v_add_co_u32 v3, s0, s0, v3
	v_add_co_ci_u32_e64 v4, null, s1, 0, s0
	s_mov_b32 s26, 0xfefa39ef
	s_mov_b32 s28, 0x3b39803f
	;; [unrolled: 1-line block ×75, first 2 shown]
	s_branch .LBB2_4
.LBB2_3:                                ;   in Loop: Header=BB2_4 Depth=1
	s_or_b32 exec_lo, exec_lo, s0
	v_mul_f64 v[15:16], v[9:10], v[9:10]
	v_mul_f64 v[25:26], v[11:12], 0.5
	s_mov_b32 s96, s6
	v_cmp_class_f64_e64 s0, v[7:8], 0x1f8
	v_and_b32_e32 v6, 1, v14
	v_lshlrev_b32_e32 v7, 30, v14
	v_add_nc_u32_e32 v0, s98, v0
	s_barrier
	v_cmp_eq_u32_e32 vcc_lo, 0, v6
	v_xor_b32_e32 v7, v7, v8
	buffer_gl0_inv
	v_and_b32_e32 v7, 0x80000000, v7
	v_fma_f64 v[17:18], v[15:16], s[90:91], s[88:89]
	v_fma_f64 v[19:20], v[15:16], s[80:81], s[78:79]
	v_mul_f64 v[21:22], v[15:16], 0.5
	v_mul_f64 v[27:28], v[9:10], -v[15:16]
	v_fma_f64 v[17:18], v[15:16], v[17:18], s[92:93]
	v_fma_f64 v[19:20], v[15:16], v[19:20], s[82:83]
	v_add_f64 v[23:24], -v[21:22], 1.0
	v_fma_f64 v[17:18], v[15:16], v[17:18], s[94:95]
	v_fma_f64 v[19:20], v[15:16], v[19:20], s[84:85]
	v_add_f64 v[29:30], -v[23:24], 1.0
	v_fma_f64 v[17:18], v[15:16], v[17:18], s[54:55]
	v_fma_f64 v[19:20], v[15:16], v[19:20], s[86:87]
	v_add_f64 v[21:22], v[29:30], -v[21:22]
	v_fma_f64 v[17:18], v[27:28], v[17:18], v[25:26]
	v_mul_f64 v[25:26], v[15:16], v[15:16]
	v_fma_f64 v[19:20], v[15:16], v[19:20], s[6:7]
	v_fma_f64 v[21:22], v[9:10], -v[11:12], v[21:22]
	v_fma_f64 v[11:12], v[15:16], v[17:18], -v[11:12]
	v_fma_f64 v[15:16], v[25:26], v[19:20], v[21:22]
	v_fma_f64 v[11:12], v[27:28], s[96:97], v[11:12]
	v_add_f64 v[15:16], v[23:24], v[15:16]
	v_add_f64 v[9:10], v[9:10], -v[11:12]
	v_cndmask_b32_e32 v8, v16, v10, vcc_lo
	v_cndmask_b32_e32 v6, v15, v9, vcc_lo
	v_cmp_lt_u32_e32 vcc_lo, 0x1fff, v0
	v_xor_b32_e32 v7, v8, v7
	v_cndmask_b32_e64 v6, 0, v6, s0
	s_or_b32 s104, vcc_lo, s104
	v_cndmask_b32_e64 v7, 0x7ff80000, v7, s0
	v_add_f64 v[1:2], v[1:2], v[6:7]
	ds_write_b64 v13, v[1:2]
	v_add_nc_u32_e32 v13, s99, v13
	s_andn2_b32 exec_lo, exec_lo, s104
	s_cbranch_execz .LBB2_8
.LBB2_4:                                ; =>This Inner Loop Header: Depth=1
	v_add_nc_u32_e32 v6, -1, v0
	v_lshlrev_b32_e32 v7, 2, v0
	v_and_b32_e32 v6, 0x1fff, v6
	v_and_b32_e32 v7, 0x7c, v7
	v_lshlrev_b32_e32 v8, 3, v6
	s_waitcnt vmcnt(0)
	ds_bpermute_b32 v6, v7, v1
	ds_bpermute_b32 v7, v7, v2
	ds_read_b64 v[8:9], v8
	s_waitcnt lgkmcnt(0)
	v_mul_f64 v[6:7], v[8:9], v[6:7]
	ds_read_b64 v[8:9], v13
	v_cmp_neq_f64_e32 vcc_lo, 1.0, v[6:7]
	s_waitcnt lgkmcnt(0)
	v_cndmask_b32_e32 v9, 0x3ff00000, v9, vcc_lo
	v_cndmask_b32_e32 v8, 0, v8, vcc_lo
	v_cmp_neq_f64_e32 vcc_lo, 0, v[8:9]
	v_cmp_neq_f64_e64 s3, v[8:9], |v[8:9]|
	v_cndmask_b32_e32 v7, 0x3ff00000, v7, vcc_lo
	v_cndmask_b32_e32 v6, 0, v6, vcc_lo
	v_frexp_mant_f64_e64 v[10:11], |v[6:7]|
	v_cmp_lt_f64_e64 s64, |v[6:7]|, 1.0
	v_cmp_eq_f64_e64 s2, 0, v[6:7]
	v_cmp_gt_f64_e32 vcc_lo, s[4:5], v[10:11]
	s_xor_b32 s3, s3, s64
	v_cmp_class_f64_e64 s64, v[6:7], 0x204
	v_cndmask_b32_e64 v12, 0, 1, vcc_lo
	v_ldexp_f64 v[10:11], v[10:11], v12
	v_frexp_exp_i32_f64_e32 v12, v[6:7]
	v_add_f64 v[14:15], v[10:11], 1.0
	v_add_f64 v[20:21], v[10:11], -1.0
	v_subrev_co_ci_u32_e64 v12, null, 0, v12, vcc_lo
	v_rcp_f64_e32 v[16:17], v[14:15]
	v_add_f64 v[22:23], v[14:15], -1.0
	v_add_f64 v[10:11], v[10:11], -v[22:23]
	v_fma_f64 v[18:19], -v[14:15], v[16:17], 1.0
	v_fma_f64 v[16:17], v[18:19], v[16:17], v[16:17]
	v_fma_f64 v[18:19], -v[14:15], v[16:17], 1.0
	v_fma_f64 v[16:17], v[18:19], v[16:17], v[16:17]
	v_mul_f64 v[18:19], v[20:21], v[16:17]
	v_mul_f64 v[24:25], v[14:15], v[18:19]
	v_fma_f64 v[14:15], v[18:19], v[14:15], -v[24:25]
	v_fma_f64 v[10:11], v[18:19], v[10:11], v[14:15]
	v_add_f64 v[14:15], v[24:25], v[10:11]
	v_add_f64 v[22:23], v[20:21], -v[14:15]
	v_add_f64 v[24:25], v[14:15], -v[24:25]
	v_add_f64 v[20:21], v[20:21], -v[22:23]
	v_add_f64 v[10:11], v[24:25], -v[10:11]
	v_add_f64 v[14:15], v[20:21], -v[14:15]
	v_add_f64 v[10:11], v[10:11], v[14:15]
	v_add_f64 v[10:11], v[22:23], v[10:11]
	v_mul_f64 v[10:11], v[16:17], v[10:11]
	v_add_f64 v[14:15], v[18:19], v[10:11]
	v_add_f64 v[16:17], v[14:15], -v[18:19]
	v_mul_f64 v[18:19], v[14:15], v[14:15]
	v_add_f64 v[10:11], v[10:11], -v[16:17]
	v_fma_f64 v[16:17], v[14:15], v[14:15], -v[18:19]
	v_add_f64 v[20:21], v[10:11], v[10:11]
	v_fma_f64 v[16:17], v[14:15], v[20:21], v[16:17]
	v_add_f64 v[20:21], v[18:19], v[16:17]
	v_fma_f64 v[22:23], v[20:21], s[10:11], s[8:9]
	v_add_f64 v[18:19], v[20:21], -v[18:19]
	v_mul_f64 v[28:29], v[14:15], v[20:21]
	v_fma_f64 v[22:23], v[20:21], v[22:23], s[12:13]
	v_add_f64 v[16:17], v[16:17], -v[18:19]
	v_fma_f64 v[22:23], v[20:21], v[22:23], s[14:15]
	v_fma_f64 v[22:23], v[20:21], v[22:23], s[16:17]
	;; [unrolled: 1-line block ×6, first 2 shown]
	v_mul_f64 v[24:25], v[20:21], v[22:23]
	v_fma_f64 v[18:19], v[20:21], v[22:23], -v[24:25]
	v_fma_f64 v[18:19], v[16:17], v[22:23], v[18:19]
	v_add_f64 v[22:23], v[24:25], v[18:19]
	v_add_f64 v[26:27], v[22:23], s[4:5]
	v_add_f64 v[24:25], v[22:23], -v[24:25]
	v_add_f64 v[30:31], v[26:27], s[30:31]
	v_add_f64 v[18:19], v[18:19], -v[24:25]
	v_fma_f64 v[24:25], v[20:21], v[14:15], -v[28:29]
	v_add_f64 v[22:23], v[22:23], -v[30:31]
	v_add_f64 v[18:19], v[18:19], s[34:35]
	v_fma_f64 v[20:21], v[20:21], v[10:11], v[24:25]
	v_ldexp_f64 v[10:11], v[10:11], 1
	v_add_f64 v[18:19], v[18:19], v[22:23]
	v_fma_f64 v[16:17], v[16:17], v[14:15], v[20:21]
	v_ldexp_f64 v[14:15], v[14:15], 1
	v_add_f64 v[20:21], v[26:27], v[18:19]
	v_add_f64 v[22:23], v[28:29], v[16:17]
	v_add_f64 v[24:25], v[26:27], -v[20:21]
	v_mul_f64 v[26:27], v[22:23], v[20:21]
	v_add_f64 v[28:29], v[22:23], -v[28:29]
	v_add_f64 v[18:19], v[18:19], v[24:25]
	v_fma_f64 v[24:25], v[22:23], v[20:21], -v[26:27]
	v_add_f64 v[16:17], v[16:17], -v[28:29]
	v_fma_f64 v[18:19], v[22:23], v[18:19], v[24:25]
	v_fma_f64 v[16:17], v[16:17], v[20:21], v[18:19]
	v_cvt_f64_i32_e32 v[20:21], v12
	v_add_f64 v[18:19], v[26:27], v[16:17]
	v_add_f64 v[22:23], v[14:15], v[18:19]
	v_add_f64 v[24:25], v[18:19], -v[26:27]
	v_mul_f64 v[26:27], v[20:21], s[26:27]
	v_add_f64 v[14:15], v[22:23], -v[14:15]
	v_add_f64 v[16:17], v[16:17], -v[24:25]
	v_fma_f64 v[24:25], v[20:21], s[26:27], -v[26:27]
	v_add_f64 v[14:15], v[18:19], -v[14:15]
	v_add_f64 v[10:11], v[10:11], v[16:17]
	v_fma_f64 v[16:17], v[20:21], s[28:29], v[24:25]
	v_add_f64 v[10:11], v[10:11], v[14:15]
	v_add_f64 v[14:15], v[26:27], v[16:17]
	;; [unrolled: 1-line block ×3, first 2 shown]
	v_add_f64 v[26:27], v[14:15], -v[26:27]
	v_add_f64 v[20:21], v[14:15], v[18:19]
	v_add_f64 v[22:23], v[18:19], -v[22:23]
	v_add_f64 v[16:17], v[16:17], -v[26:27]
	;; [unrolled: 1-line block ×6, first 2 shown]
	v_add_f64 v[22:23], v[16:17], v[10:11]
	v_add_f64 v[14:15], v[14:15], -v[28:29]
	v_add_f64 v[14:15], v[18:19], v[14:15]
	v_add_f64 v[18:19], v[22:23], -v[16:17]
	;; [unrolled: 2-line block ×3, first 2 shown]
	v_add_f64 v[10:11], v[10:11], -v[18:19]
	v_add_f64 v[24:25], v[20:21], v[14:15]
	v_add_f64 v[16:17], v[16:17], -v[22:23]
	v_add_f64 v[18:19], v[24:25], -v[20:21]
	v_add_f64 v[10:11], v[10:11], v[16:17]
	v_add_f64 v[14:15], v[14:15], -v[18:19]
	v_add_f64 v[10:11], v[10:11], v[14:15]
	v_add_f64 v[14:15], v[24:25], v[10:11]
	v_add_f64 v[16:17], v[14:15], -v[24:25]
	v_mul_f64 v[18:19], v[8:9], v[14:15]
	v_add_f64 v[10:11], v[10:11], -v[16:17]
	v_fma_f64 v[14:15], v[8:9], v[14:15], -v[18:19]
	v_cmp_class_f64_e64 vcc_lo, v[18:19], 0x204
	v_fma_f64 v[10:11], v[8:9], v[10:11], v[14:15]
	v_add_f64 v[14:15], v[18:19], v[10:11]
	v_cndmask_b32_e32 v17, v15, v19, vcc_lo
	v_cndmask_b32_e32 v16, v14, v18, vcc_lo
	v_add_f64 v[14:15], v[14:15], -v[18:19]
	v_mul_f64 v[20:21], v[16:17], s[36:37]
	v_cmp_nlt_f64_e64 s0, 0x40900000, v[16:17]
	v_cmp_neq_f64_e64 vcc_lo, 0x7ff00000, |v[16:17]|
	v_cmp_ngt_f64_e64 s1, 0xc090cc00, v[16:17]
	v_add_f64 v[10:11], v[10:11], -v[14:15]
	v_trunc_f64_e32 v[14:15], v[8:9]
	v_rndne_f64_e32 v[20:21], v[20:21]
	v_cndmask_b32_e32 v11, 0, v11, vcc_lo
	v_cndmask_b32_e32 v10, 0, v10, vcc_lo
	s_and_b32 vcc_lo, s1, s0
	v_fma_f64 v[22:23], v[20:21], s[38:39], v[16:17]
	v_cvt_i32_f64_e32 v12, v[20:21]
	v_fma_f64 v[22:23], v[20:21], s[40:41], v[22:23]
	v_fma_f64 v[24:25], v[22:23], s[44:45], s[42:43]
	;; [unrolled: 1-line block ×10, first 2 shown]
	v_fma_f64 v[24:25], v[22:23], v[24:25], 1.0
	v_fma_f64 v[20:21], v[22:23], v[24:25], 1.0
	v_ldexp_f64 v[18:19], v[20:21], v12
	v_mul_f64 v[20:21], v[8:9], 0.5
	v_cndmask_b32_e64 v12, 0x7ff00000, v19, s0
	v_trunc_f64_e32 v[16:17], v[20:21]
	v_cndmask_b32_e32 v18, 0, v18, vcc_lo
	v_cmp_eq_f64_e32 vcc_lo, v[14:15], v[8:9]
	v_cndmask_b32_e64 v15, 0x7ff00000, 0, s3
	v_cndmask_b32_e64 v19, 0, v12, s1
	v_cmp_neq_f64_e64 s3, |v[6:7]|, 1.0
	v_fma_f64 v[10:11], v[18:19], v[10:11], v[18:19]
	v_cmp_class_f64_e64 s1, v[18:19], 0x204
	v_cmp_neq_f64_e64 s0, v[16:17], v[20:21]
	v_cndmask_b32_e64 v15, 0x3ff00000, v15, s3
	v_cndmask_b32_e64 v11, v11, v19, s1
	;; [unrolled: 1-line block ×3, first 2 shown]
	v_cmp_gt_f64_e64 s1, 0, v[8:9]
	v_cndmask_b32_e32 v14, 0, v10, vcc_lo
	s_and_b32 s0, vcc_lo, s0
	v_cndmask_b32_e64 v12, 0x3ff00000, v7, s0
	v_bfi_b32 v11, 0x7fffffff, v11, v12
	v_cndmask_b32_e32 v12, 0x7ff80000, v11, vcc_lo
	v_cmp_gt_f64_e32 vcc_lo, 0, v[6:7]
	s_xor_b32 s1, s1, s2
	v_cndmask_b32_e32 v10, v10, v14, vcc_lo
	v_cndmask_b32_e32 v11, v11, v12, vcc_lo
	v_cmp_class_f64_e64 vcc_lo, v[8:9], 0x204
	v_cndmask_b32_e64 v12, 0x7ff00000, 0, s1
	v_cndmask_b32_e64 v14, 0, v7, s0
	s_or_b32 s0, s2, s64
	v_bfi_b32 v12, 0x7fffffff, v12, v14
                                        ; implicit-def: $vgpr14
	v_cndmask_b32_e32 v11, v11, v15, vcc_lo
	v_cndmask_b32_e64 v11, v11, v12, s0
	s_or_b32 s0, s0, vcc_lo
	v_cmp_o_f64_e32 vcc_lo, v[6:7], v[8:9]
	v_cndmask_b32_e64 v10, v10, 0, s0
	v_cndmask_b32_e32 v7, 0, v10, vcc_lo
	v_cndmask_b32_e32 v8, 0x7ff80000, v11, vcc_lo
                                        ; implicit-def: $vgpr9_vgpr10
                                        ; implicit-def: $vgpr11_vgpr12
	v_cmp_ngt_f64_e64 s0, 0x41d00000, |v[7:8]|
	s_and_saveexec_b32 s1, s0
	s_xor_b32 s0, exec_lo, s1
	s_cbranch_execz .LBB2_6
; %bb.5:                                ;   in Loop: Header=BB2_4 Depth=1
	v_ldexp_f64 v[9:10], |v[7:8]|, 0xffffff80
	v_cmp_le_f64_e64 vcc_lo, 0x7b000000, |v[7:8]|
	v_trig_preop_f64 v[11:12], |v[7:8]|, 0
	v_and_b32_e32 v6, 0x7fffffff, v8
	v_trig_preop_f64 v[14:15], |v[7:8]|, 1
	v_trig_preop_f64 v[24:25], |v[7:8]|, 2
	s_mov_b32 s64, s66
	s_mov_b32 s71, s69
	v_cndmask_b32_e32 v10, v6, v10, vcc_lo
	v_cndmask_b32_e32 v9, v7, v9, vcc_lo
	v_mul_f64 v[16:17], v[11:12], v[9:10]
	v_mul_f64 v[18:19], v[14:15], v[9:10]
	v_mul_f64 v[30:31], v[24:25], v[9:10]
	v_fma_f64 v[11:12], v[11:12], v[9:10], -v[16:17]
	v_fma_f64 v[14:15], v[14:15], v[9:10], -v[18:19]
	;; [unrolled: 1-line block ×3, first 2 shown]
	v_add_f64 v[20:21], v[18:19], v[11:12]
	v_add_f64 v[22:23], v[20:21], -v[18:19]
	v_add_f64 v[28:29], v[16:17], v[20:21]
	v_add_f64 v[26:27], v[20:21], -v[22:23]
	v_add_f64 v[11:12], v[11:12], -v[22:23]
	v_ldexp_f64 v[22:23], v[28:29], -2
	v_add_f64 v[16:17], v[28:29], -v[16:17]
	v_add_f64 v[18:19], v[18:19], -v[26:27]
	v_add_f64 v[26:27], v[30:31], v[14:15]
	v_cmp_neq_f64_e64 vcc_lo, 0x7ff00000, |v[22:23]|
	v_add_f64 v[16:17], v[20:21], -v[16:17]
	v_add_f64 v[11:12], v[11:12], v[18:19]
	v_fract_f64_e32 v[18:19], v[22:23]
	v_add_f64 v[20:21], v[26:27], v[11:12]
	v_ldexp_f64 v[18:19], v[18:19], 2
	v_add_f64 v[22:23], v[16:17], v[20:21]
	v_cndmask_b32_e32 v19, 0, v19, vcc_lo
	v_cndmask_b32_e32 v18, 0, v18, vcc_lo
	v_add_f64 v[32:33], v[20:21], -v[26:27]
	v_add_f64 v[28:29], v[22:23], v[18:19]
	v_add_f64 v[16:17], v[22:23], -v[16:17]
	v_add_f64 v[38:39], v[20:21], -v[32:33]
	;; [unrolled: 1-line block ×3, first 2 shown]
	v_cmp_gt_f64_e32 vcc_lo, 0, v[28:29]
	v_add_f64 v[28:29], v[26:27], -v[30:31]
	v_cndmask_b32_e64 v6, 0, 0x40100000, vcc_lo
	v_add_f64 v[36:37], v[26:27], -v[28:29]
	v_add_f64 v[14:15], v[14:15], -v[28:29]
	;; [unrolled: 1-line block ×3, first 2 shown]
	v_add_f64 v[18:19], v[18:19], v[5:6]
	v_add_f64 v[28:29], v[30:31], -v[36:37]
	v_add_f64 v[11:12], v[11:12], v[26:27]
	v_add_f64 v[34:35], v[22:23], v[18:19]
	;; [unrolled: 1-line block ×3, first 2 shown]
	v_cvt_i32_f64_e32 v6, v[34:35]
	v_add_f64 v[11:12], v[14:15], v[11:12]
	v_add_f64 v[14:15], v[20:21], -v[16:17]
	v_cvt_f64_i32_e32 v[32:33], v6
	v_add_f64 v[9:10], v[9:10], v[11:12]
	v_add_f64 v[18:19], v[18:19], -v[32:33]
	v_add_f64 v[9:10], v[14:15], v[9:10]
	v_add_f64 v[24:25], v[22:23], v[18:19]
	v_add_f64 v[11:12], v[24:25], -v[18:19]
	v_cmp_le_f64_e32 vcc_lo, 0.5, v[24:25]
	v_add_f64 v[11:12], v[22:23], -v[11:12]
	v_add_co_ci_u32_e64 v14, null, 0, v6, vcc_lo
	v_cndmask_b32_e64 v6, 0, 0x3ff00000, vcc_lo
	v_add_f64 v[9:10], v[9:10], v[11:12]
	v_add_f64 v[11:12], v[24:25], -v[5:6]
	v_add_f64 v[15:16], v[11:12], v[9:10]
	v_mul_f64 v[17:18], v[15:16], s[64:65]
	v_add_f64 v[11:12], v[15:16], -v[11:12]
	v_fma_f64 v[19:20], v[15:16], s[64:65], -v[17:18]
	v_add_f64 v[9:10], v[9:10], -v[11:12]
	v_fma_f64 v[11:12], v[15:16], s[70:71], v[19:20]
	v_fma_f64 v[11:12], v[9:10], s[64:65], v[11:12]
	v_add_f64 v[9:10], v[17:18], v[11:12]
	v_add_f64 v[15:16], v[9:10], -v[17:18]
	v_add_f64 v[11:12], v[11:12], -v[15:16]
.LBB2_6:                                ;   in Loop: Header=BB2_4 Depth=1
	s_andn2_saveexec_b32 s0, s0
	s_cbranch_execz .LBB2_3
; %bb.7:                                ;   in Loop: Header=BB2_4 Depth=1
	v_mul_f64 v[9:10], |v[7:8]|, s[72:73]
	s_mov_b32 s68, s74
	v_rndne_f64_e32 v[14:15], v[9:10]
	v_fma_f64 v[9:10], v[14:15], s[66:67], |v[7:8]|
	v_mul_f64 v[11:12], v[14:15], s[74:75]
	v_fma_f64 v[18:19], v[14:15], s[74:75], v[9:10]
	v_add_f64 v[16:17], v[9:10], v[11:12]
	v_add_f64 v[9:10], v[9:10], -v[16:17]
	v_add_f64 v[16:17], v[16:17], -v[18:19]
	v_add_f64 v[9:10], v[9:10], v[11:12]
	v_fma_f64 v[11:12], v[14:15], s[68:69], v[11:12]
	v_add_f64 v[9:10], v[16:17], v[9:10]
	v_add_f64 v[9:10], v[9:10], -v[11:12]
	v_fma_f64 v[11:12], v[14:15], s[76:77], v[9:10]
	v_cvt_i32_f64_e32 v14, v[14:15]
	v_add_f64 v[9:10], v[18:19], v[11:12]
	v_add_f64 v[16:17], v[9:10], -v[18:19]
	v_add_f64 v[11:12], v[11:12], -v[16:17]
	s_branch .LBB2_3
.LBB2_8:
	s_or_b32 exec_lo, exec_lo, s104
	v_cvt_f64_i32_e32 v[5:6], s33
	s_mov_b32 s0, exec_lo
	v_cmpx_eq_f64_e32 v[1:2], v[5:6]
	s_cbranch_execz .LBB2_10
; %bb.9:
	global_store_dwordx2 v[3:4], v[1:2], off
.LBB2_10:
	s_endpgm
	.section	.rodata,"a",@progbits
	.p2align	6, 0x0
	.amdhsa_kernel _Z8ldsboundiPd
		.amdhsa_group_segment_fixed_size 65536
		.amdhsa_private_segment_fixed_size 0
		.amdhsa_kernarg_size 272
		.amdhsa_user_sgpr_count 6
		.amdhsa_user_sgpr_private_segment_buffer 1
		.amdhsa_user_sgpr_dispatch_ptr 0
		.amdhsa_user_sgpr_queue_ptr 0
		.amdhsa_user_sgpr_kernarg_segment_ptr 1
		.amdhsa_user_sgpr_dispatch_id 0
		.amdhsa_user_sgpr_flat_scratch_init 0
		.amdhsa_user_sgpr_private_segment_size 0
		.amdhsa_wavefront_size32 1
		.amdhsa_uses_dynamic_stack 0
		.amdhsa_system_sgpr_private_segment_wavefront_offset 0
		.amdhsa_system_sgpr_workgroup_id_x 1
		.amdhsa_system_sgpr_workgroup_id_y 0
		.amdhsa_system_sgpr_workgroup_id_z 0
		.amdhsa_system_sgpr_workgroup_info 0
		.amdhsa_system_vgpr_workitem_id 0
		.amdhsa_next_free_vgpr 193
		.amdhsa_next_free_sgpr 105
		.amdhsa_reserve_vcc 1
		.amdhsa_reserve_flat_scratch 0
		.amdhsa_float_round_mode_32 0
		.amdhsa_float_round_mode_16_64 0
		.amdhsa_float_denorm_mode_32 3
		.amdhsa_float_denorm_mode_16_64 3
		.amdhsa_dx10_clamp 1
		.amdhsa_ieee_mode 1
		.amdhsa_fp16_overflow 0
		.amdhsa_workgroup_processor_mode 1
		.amdhsa_memory_ordered 1
		.amdhsa_forward_progress 1
		.amdhsa_shared_vgpr_count 0
		.amdhsa_exception_fp_ieee_invalid_op 0
		.amdhsa_exception_fp_denorm_src 0
		.amdhsa_exception_fp_ieee_div_zero 0
		.amdhsa_exception_fp_ieee_overflow 0
		.amdhsa_exception_fp_ieee_underflow 0
		.amdhsa_exception_fp_ieee_inexact 0
		.amdhsa_exception_int_div_zero 0
	.end_amdhsa_kernel
	.text
.Lfunc_end2:
	.size	_Z8ldsboundiPd, .Lfunc_end2-_Z8ldsboundiPd
                                        ; -- End function
	.set _Z8ldsboundiPd.num_vgpr, 40
	.set _Z8ldsboundiPd.num_agpr, 0
	.set _Z8ldsboundiPd.numbered_sgpr, 105
	.set _Z8ldsboundiPd.num_named_barrier, 0
	.set _Z8ldsboundiPd.private_seg_size, 0
	.set _Z8ldsboundiPd.uses_vcc, 1
	.set _Z8ldsboundiPd.uses_flat_scratch, 0
	.set _Z8ldsboundiPd.has_dyn_sized_stack, 0
	.set _Z8ldsboundiPd.has_recursion, 0
	.set _Z8ldsboundiPd.has_indirect_call, 0
	.section	.AMDGPU.csdata,"",@progbits
; Kernel info:
; codeLenInByte = 3492
; TotalNumSgprs: 107
; NumVgprs: 40
; ScratchSize: 0
; MemoryBound: 0
; FloatMode: 240
; IeeeMode: 1
; LDSByteSize: 65536 bytes/workgroup (compile time only)
; SGPRBlocks: 0
; VGPRBlocks: 24
; NumSGPRsForWavesPerEU: 107
; NumVGPRsForWavesPerEU: 193
; Occupancy: 4
; WaveLimiterHint : 0
; COMPUTE_PGM_RSRC2:SCRATCH_EN: 0
; COMPUTE_PGM_RSRC2:USER_SGPR: 6
; COMPUTE_PGM_RSRC2:TRAP_HANDLER: 0
; COMPUTE_PGM_RSRC2:TGID_X_EN: 1
; COMPUTE_PGM_RSRC2:TGID_Y_EN: 0
; COMPUTE_PGM_RSRC2:TGID_Z_EN: 0
; COMPUTE_PGM_RSRC2:TIDIG_COMP_CNT: 0
	.text
	.protected	_Z9sgprboundiPd         ; -- Begin function _Z9sgprboundiPd
	.globl	_Z9sgprboundiPd
	.p2align	8
	.type	_Z9sgprboundiPd,@function
_Z9sgprboundiPd:                        ; @_Z9sgprboundiPd
; %bb.0:
	s_load_dwordx2 s[6:7], s[4:5], 0x8
	v_mov_b32_e32 v2, 0
	v_mov_b32_e32 v3, 0
	s_mov_b32 s12, 0x55555555
	s_mov_b32 s60, 0x11110bb3
	;; [unrolled: 1-line block ×17, first 2 shown]
	s_waitcnt lgkmcnt(0)
	s_load_dwordx2 s[0:1], s[6:7], 0x0
	s_mov_b32 s40, 0xd5df274d
	s_mov_b32 s42, 0x652b82fe
	;; [unrolled: 1-line block ×19, first 2 shown]
	s_waitcnt lgkmcnt(0)
	v_mov_b32_e32 v0, s0
	v_mov_b32_e32 v1, s1
	s_mov_b32 s90, 0xb42fdfa7
	s_mov_b32 s92, 0xf9a43bb8
	;; [unrolled: 1-line block ×4, first 2 shown]
	s_movk_i32 s33, 0x64
	s_mov_b32 s8, 0
	s_mov_b32 s11, 0x3fe55555
	;; [unrolled: 1-line block ×48, first 2 shown]
	s_mov_b32 vcc_hi, 0xbfc55555
.LBB3_1:                                ; =>This Inner Loop Header: Depth=1
	v_cmp_neq_f64_e32 vcc_lo, 0, v[2:3]
	v_cndmask_b32_e32 v5, 0x3ff00000, v3, vcc_lo
	v_cndmask_b32_e32 v4, 0, v2, vcc_lo
	v_frexp_mant_f64_e64 v[6:7], |v[4:5]|
	v_cmp_lt_f64_e64 s99, |v[4:5]|, 1.0
	v_cmp_neq_f64_e64 s104, |v[4:5]|, 1.0
	v_cmp_gt_f64_e32 vcc_lo, s[10:11], v[6:7]
	v_cndmask_b32_e64 v8, 0, 1, vcc_lo
	v_ldexp_f64 v[6:7], v[6:7], v8
	v_add_f64 v[8:9], v[6:7], 1.0
	v_add_f64 v[14:15], v[6:7], -1.0
	v_rcp_f64_e32 v[10:11], v[8:9]
	v_add_f64 v[16:17], v[8:9], -1.0
	v_add_f64 v[6:7], v[6:7], -v[16:17]
	v_fma_f64 v[12:13], -v[8:9], v[10:11], 1.0
	v_fma_f64 v[10:11], v[12:13], v[10:11], v[10:11]
	v_fma_f64 v[12:13], -v[8:9], v[10:11], 1.0
	v_fma_f64 v[10:11], v[12:13], v[10:11], v[10:11]
	v_mul_f64 v[12:13], v[14:15], v[10:11]
	v_mul_f64 v[18:19], v[8:9], v[12:13]
	v_fma_f64 v[8:9], v[12:13], v[8:9], -v[18:19]
	v_fma_f64 v[6:7], v[12:13], v[6:7], v[8:9]
	v_add_f64 v[8:9], v[18:19], v[6:7]
	v_add_f64 v[16:17], v[14:15], -v[8:9]
	v_add_f64 v[18:19], v[8:9], -v[18:19]
	v_add_f64 v[14:15], v[14:15], -v[16:17]
	v_add_f64 v[6:7], v[18:19], -v[6:7]
	v_add_f64 v[8:9], v[14:15], -v[8:9]
	v_add_f64 v[6:7], v[6:7], v[8:9]
	v_add_f64 v[6:7], v[16:17], v[6:7]
	v_mul_f64 v[6:7], v[10:11], v[6:7]
	v_add_f64 v[8:9], v[12:13], v[6:7]
	v_add_f64 v[10:11], v[8:9], -v[12:13]
	v_mul_f64 v[12:13], v[8:9], v[8:9]
	v_add_f64 v[6:7], v[6:7], -v[10:11]
	v_fma_f64 v[10:11], v[8:9], v[8:9], -v[12:13]
	v_add_f64 v[14:15], v[6:7], v[6:7]
	v_fma_f64 v[10:11], v[8:9], v[14:15], v[10:11]
	v_add_f64 v[14:15], v[12:13], v[10:11]
	v_fma_f64 v[16:17], v[14:15], s[16:17], s[14:15]
	v_add_f64 v[12:13], v[14:15], -v[12:13]
	v_mul_f64 v[22:23], v[8:9], v[14:15]
	v_fma_f64 v[16:17], v[14:15], v[16:17], s[18:19]
	v_add_f64 v[10:11], v[10:11], -v[12:13]
	v_fma_f64 v[16:17], v[14:15], v[16:17], s[20:21]
	v_fma_f64 v[16:17], v[14:15], v[16:17], s[22:23]
	;; [unrolled: 1-line block ×6, first 2 shown]
	v_mul_f64 v[18:19], v[14:15], v[16:17]
	v_fma_f64 v[12:13], v[14:15], v[16:17], -v[18:19]
	v_fma_f64 v[12:13], v[10:11], v[16:17], v[12:13]
	v_add_f64 v[16:17], v[18:19], v[12:13]
	v_add_f64 v[20:21], v[16:17], s[10:11]
	v_add_f64 v[18:19], v[16:17], -v[18:19]
	v_add_f64 v[24:25], v[20:21], s[38:39]
	v_add_f64 v[12:13], v[12:13], -v[18:19]
	v_fma_f64 v[18:19], v[14:15], v[8:9], -v[22:23]
	v_add_f64 v[16:17], v[16:17], -v[24:25]
	v_add_f64 v[12:13], v[12:13], s[40:41]
	v_fma_f64 v[14:15], v[14:15], v[6:7], v[18:19]
	v_ldexp_f64 v[6:7], v[6:7], 1
	v_add_f64 v[12:13], v[12:13], v[16:17]
	v_fma_f64 v[10:11], v[10:11], v[8:9], v[14:15]
	v_ldexp_f64 v[8:9], v[8:9], 1
	v_add_f64 v[14:15], v[20:21], v[12:13]
	v_add_f64 v[16:17], v[22:23], v[10:11]
	v_add_f64 v[18:19], v[20:21], -v[14:15]
	v_mul_f64 v[20:21], v[16:17], v[14:15]
	v_add_f64 v[22:23], v[16:17], -v[22:23]
	v_add_f64 v[12:13], v[12:13], v[18:19]
	v_fma_f64 v[18:19], v[16:17], v[14:15], -v[20:21]
	v_add_f64 v[10:11], v[10:11], -v[22:23]
	v_fma_f64 v[12:13], v[16:17], v[12:13], v[18:19]
	v_fma_f64 v[10:11], v[10:11], v[14:15], v[12:13]
	v_frexp_exp_i32_f64_e32 v14, v[4:5]
	v_add_f64 v[12:13], v[20:21], v[10:11]
	v_subrev_co_ci_u32_e64 v14, null, 0, v14, vcc_lo
	v_cvt_f64_i32_e32 v[14:15], v14
	v_add_f64 v[16:17], v[8:9], v[12:13]
	v_add_f64 v[18:19], v[12:13], -v[20:21]
	v_mul_f64 v[20:21], v[14:15], s[34:35]
	v_add_f64 v[8:9], v[16:17], -v[8:9]
	v_add_f64 v[10:11], v[10:11], -v[18:19]
	v_fma_f64 v[18:19], v[14:15], s[34:35], -v[20:21]
	v_add_f64 v[8:9], v[12:13], -v[8:9]
	v_add_f64 v[6:7], v[6:7], v[10:11]
	v_fma_f64 v[10:11], v[14:15], s[36:37], v[18:19]
	v_add_f64 v[6:7], v[6:7], v[8:9]
	v_add_f64 v[8:9], v[20:21], v[10:11]
	;; [unrolled: 1-line block ×3, first 2 shown]
	v_add_f64 v[20:21], v[8:9], -v[20:21]
	v_add_f64 v[14:15], v[8:9], v[12:13]
	v_add_f64 v[16:17], v[12:13], -v[16:17]
	v_add_f64 v[10:11], v[10:11], -v[20:21]
	;; [unrolled: 1-line block ×6, first 2 shown]
	v_add_f64 v[16:17], v[10:11], v[6:7]
	v_add_f64 v[8:9], v[8:9], -v[22:23]
	v_add_f64 v[8:9], v[12:13], v[8:9]
	v_add_f64 v[12:13], v[16:17], -v[10:11]
	;; [unrolled: 2-line block ×3, first 2 shown]
	v_add_f64 v[6:7], v[6:7], -v[12:13]
	v_add_f64 v[18:19], v[14:15], v[8:9]
	v_add_f64 v[10:11], v[10:11], -v[16:17]
	v_add_f64 v[12:13], v[18:19], -v[14:15]
	v_add_f64 v[6:7], v[6:7], v[10:11]
	v_add_f64 v[8:9], v[8:9], -v[12:13]
	v_add_f64 v[6:7], v[6:7], v[8:9]
	v_add_f64 v[8:9], v[18:19], v[6:7]
	v_add_f64 v[10:11], v[8:9], -v[18:19]
	v_mul_f64 v[12:13], v[2:3], v[8:9]
	v_add_f64 v[6:7], v[6:7], -v[10:11]
	v_fma_f64 v[8:9], v[2:3], v[8:9], -v[12:13]
	v_cmp_class_f64_e64 vcc_lo, v[12:13], 0x204
	v_fma_f64 v[6:7], v[2:3], v[6:7], v[8:9]
	v_add_f64 v[8:9], v[12:13], v[6:7]
	v_cndmask_b32_e32 v11, v9, v13, vcc_lo
	v_cndmask_b32_e32 v10, v8, v12, vcc_lo
	v_add_f64 v[8:9], v[8:9], -v[12:13]
	v_mul_f64 v[12:13], v[2:3], 0.5
	v_mul_f64 v[14:15], v[10:11], s[42:43]
	v_cmp_nlt_f64_e32 vcc_lo, 0x40900000, v[10:11]
	v_cmp_ngt_f64_e64 s0, 0xc090cc00, v[10:11]
	v_cmp_neq_f64_e64 s1, 0x7ff00000, |v[10:11]|
	v_add_f64 v[6:7], v[6:7], -v[8:9]
	v_trunc_f64_e32 v[8:9], v[2:3]
	v_rndne_f64_e32 v[14:15], v[14:15]
	v_cndmask_b32_e64 v7, 0, v7, s1
	v_cndmask_b32_e64 v6, 0, v6, s1
	v_fma_f64 v[16:17], v[14:15], s[44:45], v[10:11]
	v_cvt_i32_f64_e32 v20, v[14:15]
	v_trunc_f64_e32 v[10:11], v[12:13]
	v_fma_f64 v[16:17], v[14:15], s[46:47], v[16:17]
	v_cmp_neq_f64_e64 s1, v[10:11], v[12:13]
	v_fma_f64 v[18:19], v[16:17], s[50:51], s[48:49]
	v_fma_f64 v[18:19], v[16:17], v[18:19], s[52:53]
	;; [unrolled: 1-line block ×9, first 2 shown]
	v_fma_f64 v[18:19], v[16:17], v[18:19], 1.0
	v_fma_f64 v[14:15], v[16:17], v[18:19], 1.0
	v_ldexp_f64 v[14:15], v[14:15], v20
	v_cndmask_b32_e32 v15, 0x7ff00000, v15, vcc_lo
	v_readfirstlane_b32 s2, v14
	v_cndmask_b32_e64 v15, 0, v15, s0
	s_and_b32 s0, s0, vcc_lo
	s_and_b32 s0, s0, exec_lo
	s_cselect_b32 s2, s2, 0
	v_cmp_eq_f64_e64 s0, v[8:9], v[2:3]
	v_mov_b32_e32 v14, s2
	v_fma_f64 v[6:7], v[14:15], v[6:7], v[14:15]
	v_cmp_class_f64_e64 vcc_lo, v[14:15], 0x204
	v_readfirstlane_b32 s9, v6
	s_and_b32 s72, vcc_lo, exec_lo
	v_cndmask_b32_e32 v6, v7, v15, vcc_lo
	v_cmp_neq_f64_e64 s72, v[2:3], |v[2:3]|
	s_cselect_b32 s9, s2, s9
	s_and_b32 vcc_lo, s0, s1
	v_cmp_gt_f64_e64 s1, 0, v[4:5]
	v_cndmask_b32_e32 v7, 0x3ff00000, v5, vcc_lo
	v_cmp_gt_f64_e64 s2, 0, v[2:3]
	v_bfi_b32 v6, 0x7fffffff, v6, v7
	v_cndmask_b32_e64 v7, 0x7ff80000, v6, s0
	s_and_b32 s0, s0, exec_lo
	s_cselect_b32 s0, s9, 0
	v_cndmask_b32_e64 v6, v6, v7, s1
	s_and_b32 s1, s1, exec_lo
	s_cselect_b32 s1, s0, s9
	s_xor_b32 s0, s72, s99
	v_cndmask_b32_e32 v7, 0, v5, vcc_lo
	s_and_b32 s0, s0, exec_lo
	s_cselect_b32 s0, 0, 0x7ff00000
	s_and_b32 s9, s104, exec_lo
	v_cmp_class_f64_e64 s9, v[2:3], 0x204
	v_cmp_class_f64_e64 vcc_lo, v[4:5], 0x204
	s_cselect_b32 s0, s0, 0x3ff00000
	s_and_b32 s2, s2, exec_lo
	s_cselect_b32 s2, 0, 0x7ff00000
	v_bfi_b32 v7, 0x7fffffff, s2, v7
	v_cndmask_b32_e64 v6, v6, s0, s9
	v_cmp_o_f64_e64 s0, v[4:5], v[2:3]
	s_or_b32 s2, vcc_lo, s9
	s_and_b32 s2, s2, exec_lo
	v_cndmask_b32_e32 v6, v6, v7, vcc_lo
	s_cselect_b32 s1, 0, s1
	v_cndmask_b32_e64 v3, 0x7ff80000, v6, s0
	s_and_b32 s0, s0, exec_lo
	s_cselect_b32 s0, s1, 0
	v_mov_b32_e32 v2, s0
	v_cmp_ngt_f64_e64 s0, 0x41d00000, |v[2:3]|
	s_and_b32 vcc_lo, exec_lo, s0
	s_cbranch_vccz .LBB3_3
; %bb.2:                                ;   in Loop: Header=BB3_1 Depth=1
	v_ldexp_f64 v[4:5], |v[2:3]|, 0xffffff80
	v_cmp_le_f64_e64 vcc_lo, 0x7b000000, |v[2:3]|
	v_trig_preop_f64 v[6:7], |v[2:3]|, 0
	v_and_b32_e32 v8, 0x7fffffff, v3
	v_trig_preop_f64 v[18:19], |v[2:3]|, 2
	s_mov_b32 s2, s70
	s_mov_b32 s99, s73
	v_cndmask_b32_e32 v5, v8, v5, vcc_lo
	v_cndmask_b32_e32 v4, v2, v4, vcc_lo
	v_trig_preop_f64 v[8:9], |v[2:3]|, 1
	v_mul_f64 v[10:11], v[6:7], v[4:5]
	v_mul_f64 v[24:25], v[18:19], v[4:5]
	;; [unrolled: 1-line block ×3, first 2 shown]
	v_fma_f64 v[6:7], v[6:7], v[4:5], -v[10:11]
	v_fma_f64 v[8:9], v[8:9], v[4:5], -v[12:13]
	;; [unrolled: 1-line block ×3, first 2 shown]
	v_add_f64 v[14:15], v[12:13], v[6:7]
	v_add_f64 v[16:17], v[14:15], -v[12:13]
	v_add_f64 v[22:23], v[10:11], v[14:15]
	v_add_f64 v[20:21], v[14:15], -v[16:17]
	v_add_f64 v[6:7], v[6:7], -v[16:17]
	v_ldexp_f64 v[16:17], v[22:23], -2
	v_add_f64 v[10:11], v[22:23], -v[10:11]
	v_add_f64 v[12:13], v[12:13], -v[20:21]
	v_add_f64 v[20:21], v[24:25], v[8:9]
	v_cmp_neq_f64_e64 vcc_lo, 0x7ff00000, |v[16:17]|
	v_add_f64 v[10:11], v[14:15], -v[10:11]
	v_add_f64 v[6:7], v[6:7], v[12:13]
	v_fract_f64_e32 v[12:13], v[16:17]
	v_add_f64 v[14:15], v[20:21], v[6:7]
	v_ldexp_f64 v[12:13], v[12:13], 2
	v_add_f64 v[16:17], v[10:11], v[14:15]
	v_cndmask_b32_e32 v13, 0, v13, vcc_lo
	v_cndmask_b32_e32 v12, 0, v12, vcc_lo
	v_add_f64 v[26:27], v[14:15], -v[20:21]
	v_add_f64 v[22:23], v[16:17], v[12:13]
	v_add_f64 v[10:11], v[16:17], -v[10:11]
	v_add_f64 v[32:33], v[14:15], -v[26:27]
	v_add_f64 v[6:7], v[6:7], -v[26:27]
	v_cmp_gt_f64_e32 vcc_lo, 0, v[22:23]
	v_add_f64 v[22:23], v[20:21], -v[24:25]
	s_and_b32 s0, vcc_lo, exec_lo
	s_cselect_b32 s9, 0x40100000, 0
	v_add_f64 v[30:31], v[20:21], -v[22:23]
	v_add_f64 v[12:13], v[12:13], s[8:9]
	v_add_f64 v[8:9], v[8:9], -v[22:23]
	v_add_f64 v[20:21], v[20:21], -v[32:33]
	;; [unrolled: 1-line block ×3, first 2 shown]
	v_add_f64 v[28:29], v[16:17], v[12:13]
	v_add_f64 v[6:7], v[6:7], v[20:21]
	;; [unrolled: 1-line block ×3, first 2 shown]
	v_cvt_i32_f64_e32 v28, v[28:29]
	v_add_f64 v[6:7], v[8:9], v[6:7]
	v_cvt_f64_i32_e32 v[26:27], v28
	v_add_f64 v[8:9], v[14:15], -v[10:11]
	v_add_f64 v[4:5], v[4:5], v[6:7]
	v_add_f64 v[12:13], v[12:13], -v[26:27]
	v_add_f64 v[4:5], v[8:9], v[4:5]
	v_add_f64 v[18:19], v[16:17], v[12:13]
	v_add_f64 v[6:7], v[18:19], -v[12:13]
	v_cmp_le_f64_e32 vcc_lo, 0.5, v[18:19]
	v_add_f64 v[6:7], v[16:17], -v[6:7]
	s_and_b32 s0, vcc_lo, exec_lo
	s_cselect_b32 s9, 0x3ff00000, 0
	v_add_co_ci_u32_e64 v8, null, 0, v28, vcc_lo
	v_add_f64 v[4:5], v[4:5], v[6:7]
	v_add_f64 v[6:7], v[18:19], -s[8:9]
	v_add_f64 v[9:10], v[6:7], v[4:5]
	v_mul_f64 v[11:12], v[9:10], s[2:3]
	v_add_f64 v[6:7], v[9:10], -v[6:7]
	v_fma_f64 v[13:14], v[9:10], s[2:3], -v[11:12]
	v_add_f64 v[4:5], v[4:5], -v[6:7]
	v_fma_f64 v[6:7], v[9:10], s[98:99], v[13:14]
	v_fma_f64 v[6:7], v[4:5], s[2:3], v[6:7]
	v_add_f64 v[4:5], v[11:12], v[6:7]
	v_add_f64 v[9:10], v[4:5], -v[11:12]
	v_add_f64 v[6:7], v[6:7], -v[9:10]
	s_cbranch_execz .LBB3_4
	s_branch .LBB3_5
.LBB3_3:                                ;   in Loop: Header=BB3_1 Depth=1
                                        ; implicit-def: $vgpr8
                                        ; implicit-def: $vgpr4_vgpr5
                                        ; implicit-def: $vgpr6_vgpr7
.LBB3_4:                                ;   in Loop: Header=BB3_1 Depth=1
	v_mul_f64 v[4:5], |v[2:3]|, s[74:75]
	s_mov_b32 s72, s76
	v_rndne_f64_e32 v[8:9], v[4:5]
	v_fma_f64 v[4:5], v[8:9], s[70:71], |v[2:3]|
	v_mul_f64 v[6:7], v[8:9], s[76:77]
	v_fma_f64 v[12:13], v[8:9], s[76:77], v[4:5]
	v_add_f64 v[10:11], v[4:5], v[6:7]
	v_add_f64 v[4:5], v[4:5], -v[10:11]
	v_add_f64 v[10:11], v[10:11], -v[12:13]
	v_add_f64 v[4:5], v[4:5], v[6:7]
	v_fma_f64 v[6:7], v[8:9], s[72:73], v[6:7]
	v_add_f64 v[4:5], v[10:11], v[4:5]
	v_add_f64 v[4:5], v[4:5], -v[6:7]
	v_fma_f64 v[6:7], v[8:9], s[78:79], v[4:5]
	v_cvt_i32_f64_e32 v8, v[8:9]
	v_add_f64 v[4:5], v[12:13], v[6:7]
	v_add_f64 v[10:11], v[4:5], -v[12:13]
	v_add_f64 v[6:7], v[6:7], -v[10:11]
.LBB3_5:                                ;   in Loop: Header=BB3_1 Depth=1
	v_mul_f64 v[9:10], v[4:5], v[4:5]
	v_mul_f64 v[19:20], v[6:7], 0.5
	s_mov_b32 vcc_lo, s12
	v_cmp_class_f64_e64 s0, v[2:3], 0x1f8
	v_lshlrev_b32_e32 v2, 30, v8
	s_add_i32 s33, s33, -1
	s_cmp_eq_u32 s33, 0
	v_xor_b32_e32 v2, v2, v3
	v_and_b32_e32 v2, 0x80000000, v2
	v_fma_f64 v[11:12], v[9:10], s[92:93], s[90:91]
	v_fma_f64 v[13:14], v[9:10], s[82:83], s[80:81]
	v_mul_f64 v[15:16], v[9:10], 0.5
	v_mul_f64 v[21:22], v[4:5], -v[9:10]
	v_fma_f64 v[11:12], v[9:10], v[11:12], s[94:95]
	v_fma_f64 v[13:14], v[9:10], v[13:14], s[84:85]
	v_add_f64 v[17:18], -v[15:16], 1.0
	v_fma_f64 v[11:12], v[9:10], v[11:12], s[96:97]
	v_fma_f64 v[13:14], v[9:10], v[13:14], s[86:87]
	v_add_f64 v[23:24], -v[17:18], 1.0
	v_fma_f64 v[11:12], v[9:10], v[11:12], s[60:61]
	v_fma_f64 v[13:14], v[9:10], v[13:14], s[88:89]
	v_add_f64 v[15:16], v[23:24], -v[15:16]
	v_fma_f64 v[11:12], v[21:22], v[11:12], v[19:20]
	v_mul_f64 v[19:20], v[9:10], v[9:10]
	v_fma_f64 v[13:14], v[9:10], v[13:14], s[12:13]
	v_fma_f64 v[15:16], v[4:5], -v[6:7], v[15:16]
	v_fma_f64 v[6:7], v[9:10], v[11:12], -v[6:7]
	v_fma_f64 v[9:10], v[19:20], v[13:14], v[15:16]
	v_fma_f64 v[6:7], v[21:22], vcc, v[6:7]
	v_add_f64 v[9:10], v[17:18], v[9:10]
	v_add_f64 v[4:5], v[4:5], -v[6:7]
	v_and_b32_e32 v6, 1, v8
	v_cmp_eq_u32_e32 vcc_lo, 0, v6
	v_cndmask_b32_e32 v3, v10, v5, vcc_lo
	v_cndmask_b32_e32 v4, v9, v4, vcc_lo
	v_xor_b32_e32 v3, v3, v2
	v_cndmask_b32_e64 v2, 0, v4, s0
	v_cndmask_b32_e64 v3, 0x7ff80000, v3, s0
	v_add_f64 v[0:1], v[0:1], v[2:3]
	s_cbranch_scc1 .LBB3_7
; %bb.6:                                ;   in Loop: Header=BB3_1 Depth=1
	v_mov_b32_e32 v3, v1
	v_mov_b32_e32 v2, v0
	s_branch .LBB3_1
.LBB3_7:
	s_load_dword s0, s[4:5], 0x0
	s_waitcnt lgkmcnt(0)
	v_cvt_f64_i32_e32 v[2:3], s0
	v_cmp_eq_f64_e32 vcc_lo, v[0:1], v[2:3]
	s_cbranch_vccz .LBB3_9
; %bb.8:
	v_mov_b32_e32 v2, 0
	global_store_dwordx2 v2, v[0:1], s[6:7]
.LBB3_9:
	s_endpgm
	.section	.rodata,"a",@progbits
	.p2align	6, 0x0
	.amdhsa_kernel _Z9sgprboundiPd
		.amdhsa_group_segment_fixed_size 0
		.amdhsa_private_segment_fixed_size 0
		.amdhsa_kernarg_size 16
		.amdhsa_user_sgpr_count 6
		.amdhsa_user_sgpr_private_segment_buffer 1
		.amdhsa_user_sgpr_dispatch_ptr 0
		.amdhsa_user_sgpr_queue_ptr 0
		.amdhsa_user_sgpr_kernarg_segment_ptr 1
		.amdhsa_user_sgpr_dispatch_id 0
		.amdhsa_user_sgpr_flat_scratch_init 0
		.amdhsa_user_sgpr_private_segment_size 0
		.amdhsa_wavefront_size32 1
		.amdhsa_uses_dynamic_stack 0
		.amdhsa_system_sgpr_private_segment_wavefront_offset 0
		.amdhsa_system_sgpr_workgroup_id_x 1
		.amdhsa_system_sgpr_workgroup_id_y 0
		.amdhsa_system_sgpr_workgroup_id_z 0
		.amdhsa_system_sgpr_workgroup_info 0
		.amdhsa_system_vgpr_workitem_id 0
		.amdhsa_next_free_vgpr 34
		.amdhsa_next_free_sgpr 105
		.amdhsa_reserve_vcc 1
		.amdhsa_reserve_flat_scratch 0
		.amdhsa_float_round_mode_32 0
		.amdhsa_float_round_mode_16_64 0
		.amdhsa_float_denorm_mode_32 3
		.amdhsa_float_denorm_mode_16_64 3
		.amdhsa_dx10_clamp 1
		.amdhsa_ieee_mode 1
		.amdhsa_fp16_overflow 0
		.amdhsa_workgroup_processor_mode 1
		.amdhsa_memory_ordered 1
		.amdhsa_forward_progress 1
		.amdhsa_shared_vgpr_count 0
		.amdhsa_exception_fp_ieee_invalid_op 0
		.amdhsa_exception_fp_denorm_src 0
		.amdhsa_exception_fp_ieee_div_zero 0
		.amdhsa_exception_fp_ieee_overflow 0
		.amdhsa_exception_fp_ieee_underflow 0
		.amdhsa_exception_fp_ieee_inexact 0
		.amdhsa_exception_int_div_zero 0
	.end_amdhsa_kernel
	.text
.Lfunc_end3:
	.size	_Z9sgprboundiPd, .Lfunc_end3-_Z9sgprboundiPd
                                        ; -- End function
	.set _Z9sgprboundiPd.num_vgpr, 34
	.set _Z9sgprboundiPd.num_agpr, 0
	.set _Z9sgprboundiPd.numbered_sgpr, 105
	.set _Z9sgprboundiPd.num_named_barrier, 0
	.set _Z9sgprboundiPd.private_seg_size, 0
	.set _Z9sgprboundiPd.uses_vcc, 1
	.set _Z9sgprboundiPd.uses_flat_scratch, 0
	.set _Z9sgprboundiPd.has_dyn_sized_stack, 0
	.set _Z9sgprboundiPd.has_recursion, 0
	.set _Z9sgprboundiPd.has_indirect_call, 0
	.section	.AMDGPU.csdata,"",@progbits
; Kernel info:
; codeLenInByte = 3276
; TotalNumSgprs: 107
; NumVgprs: 34
; ScratchSize: 0
; MemoryBound: 0
; FloatMode: 240
; IeeeMode: 1
; LDSByteSize: 0 bytes/workgroup (compile time only)
; SGPRBlocks: 0
; VGPRBlocks: 4
; NumSGPRsForWavesPerEU: 107
; NumVGPRsForWavesPerEU: 34
; Occupancy: 16
; WaveLimiterHint : 0
; COMPUTE_PGM_RSRC2:SCRATCH_EN: 0
; COMPUTE_PGM_RSRC2:USER_SGPR: 6
; COMPUTE_PGM_RSRC2:TRAP_HANDLER: 0
; COMPUTE_PGM_RSRC2:TGID_X_EN: 1
; COMPUTE_PGM_RSRC2:TGID_Y_EN: 0
; COMPUTE_PGM_RSRC2:TGID_Z_EN: 0
; COMPUTE_PGM_RSRC2:TIDIG_COMP_CNT: 0
	.text
	.p2alignl 6, 3214868480
	.fill 48, 4, 3214868480
	.section	.AMDGPU.gpr_maximums,"",@progbits
	.set amdgpu.max_num_vgpr, 0
	.set amdgpu.max_num_agpr, 0
	.set amdgpu.max_num_sgpr, 0
	.text
	.type	__hip_cuid_66798ecd246fb654,@object ; @__hip_cuid_66798ecd246fb654
	.section	.bss,"aw",@nobits
	.globl	__hip_cuid_66798ecd246fb654
__hip_cuid_66798ecd246fb654:
	.byte	0                               ; 0x0
	.size	__hip_cuid_66798ecd246fb654, 1

	.ident	"AMD clang version 22.0.0git (https://github.com/RadeonOpenCompute/llvm-project roc-7.2.4 26084 f58b06dce1f9c15707c5f808fd002e18c2accf7e)"
	.section	".note.GNU-stack","",@progbits
	.addrsig
	.addrsig_sym __hip_cuid_66798ecd246fb654
	.amdgpu_metadata
---
amdhsa.kernels:
  - .args:
      - .offset:         0
        .size:           4
        .value_kind:     by_value
      - .address_space:  global
        .offset:         8
        .size:           8
        .value_kind:     global_buffer
    .group_segment_fixed_size: 0
    .kernarg_segment_align: 8
    .kernarg_segment_size: 16
    .language:       OpenCL C
    .language_version:
      - 2
      - 0
    .max_flat_workgroup_size: 1024
    .name:           _Z5emptyiPd
    .private_segment_fixed_size: 0
    .sgpr_count:     0
    .sgpr_spill_count: 0
    .symbol:         _Z5emptyiPd.kd
    .uniform_work_group_size: 1
    .uses_dynamic_stack: false
    .vgpr_count:     0
    .vgpr_spill_count: 0
    .wavefront_size: 32
    .workgroup_processor_mode: 1
  - .args:
      - .offset:         0
        .size:           4
        .value_kind:     by_value
      - .address_space:  global
        .offset:         8
        .size:           8
        .value_kind:     global_buffer
    .group_segment_fixed_size: 0
    .kernarg_segment_align: 8
    .kernarg_segment_size: 16
    .language:       OpenCL C
    .language_version:
      - 2
      - 0
    .max_flat_workgroup_size: 256
    .name:           _Z9vgprboundiPd
    .private_segment_fixed_size: 0
    .sgpr_count:     101
    .sgpr_spill_count: 0
    .symbol:         _Z9vgprboundiPd.kd
    .uniform_work_group_size: 1
    .uses_dynamic_stack: false
    .vgpr_count:     70
    .vgpr_spill_count: 0
    .wavefront_size: 32
    .workgroup_processor_mode: 1
  - .args:
      - .offset:         0
        .size:           4
        .value_kind:     by_value
      - .address_space:  global
        .offset:         8
        .size:           8
        .value_kind:     global_buffer
      - .offset:         16
        .size:           4
        .value_kind:     hidden_block_count_x
      - .offset:         20
        .size:           4
        .value_kind:     hidden_block_count_y
      - .offset:         24
        .size:           4
        .value_kind:     hidden_block_count_z
      - .offset:         28
        .size:           2
        .value_kind:     hidden_group_size_x
      - .offset:         30
        .size:           2
        .value_kind:     hidden_group_size_y
      - .offset:         32
        .size:           2
        .value_kind:     hidden_group_size_z
      - .offset:         34
        .size:           2
        .value_kind:     hidden_remainder_x
      - .offset:         36
        .size:           2
        .value_kind:     hidden_remainder_y
      - .offset:         38
        .size:           2
        .value_kind:     hidden_remainder_z
      - .offset:         56
        .size:           8
        .value_kind:     hidden_global_offset_x
      - .offset:         64
        .size:           8
        .value_kind:     hidden_global_offset_y
      - .offset:         72
        .size:           8
        .value_kind:     hidden_global_offset_z
      - .offset:         80
        .size:           2
        .value_kind:     hidden_grid_dims
    .group_segment_fixed_size: 65536
    .kernarg_segment_align: 8
    .kernarg_segment_size: 272
    .language:       OpenCL C
    .language_version:
      - 2
      - 0
    .max_flat_workgroup_size: 256
    .name:           _Z8ldsboundiPd
    .private_segment_fixed_size: 0
    .sgpr_count:     107
    .sgpr_spill_count: 0
    .symbol:         _Z8ldsboundiPd.kd
    .uniform_work_group_size: 1
    .uses_dynamic_stack: false
    .vgpr_count:     40
    .vgpr_spill_count: 0
    .wavefront_size: 32
    .workgroup_processor_mode: 1
  - .args:
      - .offset:         0
        .size:           4
        .value_kind:     by_value
      - .address_space:  global
        .offset:         8
        .size:           8
        .value_kind:     global_buffer
    .group_segment_fixed_size: 0
    .kernarg_segment_align: 8
    .kernarg_segment_size: 16
    .language:       OpenCL C
    .language_version:
      - 2
      - 0
    .max_flat_workgroup_size: 1024
    .name:           _Z9sgprboundiPd
    .private_segment_fixed_size: 0
    .sgpr_count:     107
    .sgpr_spill_count: 0
    .symbol:         _Z9sgprboundiPd.kd
    .uniform_work_group_size: 1
    .uses_dynamic_stack: false
    .vgpr_count:     34
    .vgpr_spill_count: 0
    .wavefront_size: 32
    .workgroup_processor_mode: 1
amdhsa.target:   amdgcn-amd-amdhsa--gfx1030
amdhsa.version:
  - 1
  - 2
...

	.end_amdgpu_metadata
